;; amdgpu-corpus repo=ROCm/rocFFT kind=compiled arch=gfx1030 opt=O3
	.text
	.amdgcn_target "amdgcn-amd-amdhsa--gfx1030"
	.amdhsa_code_object_version 6
	.protected	fft_rtc_back_len272_factors_16_17_wgs_119_tpt_17_halfLds_dp_ip_CI_unitstride_sbrr_dirReg ; -- Begin function fft_rtc_back_len272_factors_16_17_wgs_119_tpt_17_halfLds_dp_ip_CI_unitstride_sbrr_dirReg
	.globl	fft_rtc_back_len272_factors_16_17_wgs_119_tpt_17_halfLds_dp_ip_CI_unitstride_sbrr_dirReg
	.p2align	8
	.type	fft_rtc_back_len272_factors_16_17_wgs_119_tpt_17_halfLds_dp_ip_CI_unitstride_sbrr_dirReg,@function
fft_rtc_back_len272_factors_16_17_wgs_119_tpt_17_halfLds_dp_ip_CI_unitstride_sbrr_dirReg: ; @fft_rtc_back_len272_factors_16_17_wgs_119_tpt_17_halfLds_dp_ip_CI_unitstride_sbrr_dirReg
; %bb.0:
	s_load_dwordx4 s[8:11], s[4:5], 0x0
	v_mul_u32_u24_e32 v1, 0xf10, v0
	s_clause 0x1
	s_load_dwordx2 s[2:3], s[4:5], 0x50
	s_load_dwordx2 s[12:13], s[4:5], 0x18
	v_lshrrev_b32_e32 v2, 16, v1
	v_mov_b32_e32 v1, 0
	v_mad_u64_u32 v[20:21], null, s6, 7, v[2:3]
	v_mov_b32_e32 v21, v1
	v_mov_b32_e32 v3, 0
	;; [unrolled: 1-line block ×4, first 2 shown]
	s_waitcnt lgkmcnt(0)
	v_cmp_lt_u64_e64 s0, s[10:11], 2
	v_mov_b32_e32 v8, v21
	s_and_b32 vcc_lo, exec_lo, s0
	s_cbranch_vccnz .LBB0_8
; %bb.1:
	s_load_dwordx2 s[0:1], s[4:5], 0x10
	v_mov_b32_e32 v3, 0
	v_mov_b32_e32 v5, v20
	s_add_u32 s6, s12, 8
	v_mov_b32_e32 v4, 0
	v_mov_b32_e32 v6, v21
	s_addc_u32 s7, s13, 0
	s_mov_b64 s[16:17], 1
	s_waitcnt lgkmcnt(0)
	s_add_u32 s14, s0, 8
	s_addc_u32 s15, s1, 0
.LBB0_2:                                ; =>This Inner Loop Header: Depth=1
	s_load_dwordx2 s[18:19], s[14:15], 0x0
                                        ; implicit-def: $vgpr7_vgpr8
	s_mov_b32 s0, exec_lo
	s_waitcnt lgkmcnt(0)
	v_or_b32_e32 v2, s19, v6
	v_cmpx_ne_u64_e32 0, v[1:2]
	s_xor_b32 s1, exec_lo, s0
	s_cbranch_execz .LBB0_4
; %bb.3:                                ;   in Loop: Header=BB0_2 Depth=1
	v_cvt_f32_u32_e32 v2, s18
	v_cvt_f32_u32_e32 v7, s19
	s_sub_u32 s0, 0, s18
	s_subb_u32 s20, 0, s19
	v_fmac_f32_e32 v2, 0x4f800000, v7
	v_rcp_f32_e32 v2, v2
	v_mul_f32_e32 v2, 0x5f7ffffc, v2
	v_mul_f32_e32 v7, 0x2f800000, v2
	v_trunc_f32_e32 v7, v7
	v_fmac_f32_e32 v2, 0xcf800000, v7
	v_cvt_u32_f32_e32 v7, v7
	v_cvt_u32_f32_e32 v2, v2
	v_mul_lo_u32 v8, s0, v7
	v_mul_hi_u32 v9, s0, v2
	v_mul_lo_u32 v10, s20, v2
	v_add_nc_u32_e32 v8, v9, v8
	v_mul_lo_u32 v9, s0, v2
	v_add_nc_u32_e32 v8, v8, v10
	v_mul_hi_u32 v10, v2, v9
	v_mul_lo_u32 v11, v2, v8
	v_mul_hi_u32 v12, v2, v8
	v_mul_hi_u32 v13, v7, v9
	v_mul_lo_u32 v9, v7, v9
	v_mul_hi_u32 v14, v7, v8
	v_mul_lo_u32 v8, v7, v8
	v_add_co_u32 v10, vcc_lo, v10, v11
	v_add_co_ci_u32_e32 v11, vcc_lo, 0, v12, vcc_lo
	v_add_co_u32 v9, vcc_lo, v10, v9
	v_add_co_ci_u32_e32 v9, vcc_lo, v11, v13, vcc_lo
	v_add_co_ci_u32_e32 v10, vcc_lo, 0, v14, vcc_lo
	v_add_co_u32 v8, vcc_lo, v9, v8
	v_add_co_ci_u32_e32 v9, vcc_lo, 0, v10, vcc_lo
	v_add_co_u32 v2, vcc_lo, v2, v8
	v_add_co_ci_u32_e32 v7, vcc_lo, v7, v9, vcc_lo
	v_mul_hi_u32 v8, s0, v2
	v_mul_lo_u32 v10, s20, v2
	v_mul_lo_u32 v9, s0, v7
	v_add_nc_u32_e32 v8, v8, v9
	v_mul_lo_u32 v9, s0, v2
	v_add_nc_u32_e32 v8, v8, v10
	v_mul_hi_u32 v10, v2, v9
	v_mul_lo_u32 v11, v2, v8
	v_mul_hi_u32 v12, v2, v8
	v_mul_hi_u32 v13, v7, v9
	v_mul_lo_u32 v9, v7, v9
	v_mul_hi_u32 v14, v7, v8
	v_mul_lo_u32 v8, v7, v8
	v_add_co_u32 v10, vcc_lo, v10, v11
	v_add_co_ci_u32_e32 v11, vcc_lo, 0, v12, vcc_lo
	v_add_co_u32 v9, vcc_lo, v10, v9
	v_add_co_ci_u32_e32 v9, vcc_lo, v11, v13, vcc_lo
	v_add_co_ci_u32_e32 v10, vcc_lo, 0, v14, vcc_lo
	v_add_co_u32 v8, vcc_lo, v9, v8
	v_add_co_ci_u32_e32 v9, vcc_lo, 0, v10, vcc_lo
	v_add_co_u32 v2, vcc_lo, v2, v8
	v_add_co_ci_u32_e32 v11, vcc_lo, v7, v9, vcc_lo
	v_mul_hi_u32 v13, v5, v2
	v_mad_u64_u32 v[9:10], null, v6, v2, 0
	v_mad_u64_u32 v[7:8], null, v5, v11, 0
	v_mad_u64_u32 v[11:12], null, v6, v11, 0
	v_add_co_u32 v2, vcc_lo, v13, v7
	v_add_co_ci_u32_e32 v7, vcc_lo, 0, v8, vcc_lo
	v_add_co_u32 v2, vcc_lo, v2, v9
	v_add_co_ci_u32_e32 v2, vcc_lo, v7, v10, vcc_lo
	v_add_co_ci_u32_e32 v7, vcc_lo, 0, v12, vcc_lo
	v_add_co_u32 v2, vcc_lo, v2, v11
	v_add_co_ci_u32_e32 v9, vcc_lo, 0, v7, vcc_lo
	v_mul_lo_u32 v10, s19, v2
	v_mad_u64_u32 v[7:8], null, s18, v2, 0
	v_mul_lo_u32 v11, s18, v9
	v_sub_co_u32 v7, vcc_lo, v5, v7
	v_add3_u32 v8, v8, v11, v10
	v_sub_nc_u32_e32 v10, v6, v8
	v_subrev_co_ci_u32_e64 v10, s0, s19, v10, vcc_lo
	v_add_co_u32 v11, s0, v2, 2
	v_add_co_ci_u32_e64 v12, s0, 0, v9, s0
	v_sub_co_u32 v13, s0, v7, s18
	v_sub_co_ci_u32_e32 v8, vcc_lo, v6, v8, vcc_lo
	v_subrev_co_ci_u32_e64 v10, s0, 0, v10, s0
	v_cmp_le_u32_e32 vcc_lo, s18, v13
	v_cmp_eq_u32_e64 s0, s19, v8
	v_cndmask_b32_e64 v13, 0, -1, vcc_lo
	v_cmp_le_u32_e32 vcc_lo, s19, v10
	v_cndmask_b32_e64 v14, 0, -1, vcc_lo
	v_cmp_le_u32_e32 vcc_lo, s18, v7
	;; [unrolled: 2-line block ×3, first 2 shown]
	v_cndmask_b32_e64 v15, 0, -1, vcc_lo
	v_cmp_eq_u32_e32 vcc_lo, s19, v10
	v_cndmask_b32_e64 v7, v15, v7, s0
	v_cndmask_b32_e32 v10, v14, v13, vcc_lo
	v_add_co_u32 v13, vcc_lo, v2, 1
	v_add_co_ci_u32_e32 v14, vcc_lo, 0, v9, vcc_lo
	v_cmp_ne_u32_e32 vcc_lo, 0, v10
	v_cndmask_b32_e32 v8, v14, v12, vcc_lo
	v_cndmask_b32_e32 v10, v13, v11, vcc_lo
	v_cmp_ne_u32_e32 vcc_lo, 0, v7
	v_cndmask_b32_e32 v8, v9, v8, vcc_lo
	v_cndmask_b32_e32 v7, v2, v10, vcc_lo
.LBB0_4:                                ;   in Loop: Header=BB0_2 Depth=1
	s_andn2_saveexec_b32 s0, s1
	s_cbranch_execz .LBB0_6
; %bb.5:                                ;   in Loop: Header=BB0_2 Depth=1
	v_cvt_f32_u32_e32 v2, s18
	s_sub_i32 s1, 0, s18
	v_rcp_iflag_f32_e32 v2, v2
	v_mul_f32_e32 v2, 0x4f7ffffe, v2
	v_cvt_u32_f32_e32 v2, v2
	v_mul_lo_u32 v7, s1, v2
	v_mul_hi_u32 v7, v2, v7
	v_add_nc_u32_e32 v2, v2, v7
	v_mul_hi_u32 v2, v5, v2
	v_mul_lo_u32 v7, v2, s18
	v_add_nc_u32_e32 v8, 1, v2
	v_sub_nc_u32_e32 v7, v5, v7
	v_subrev_nc_u32_e32 v9, s18, v7
	v_cmp_le_u32_e32 vcc_lo, s18, v7
	v_cndmask_b32_e32 v7, v7, v9, vcc_lo
	v_cndmask_b32_e32 v2, v2, v8, vcc_lo
	v_cmp_le_u32_e32 vcc_lo, s18, v7
	v_add_nc_u32_e32 v8, 1, v2
	v_cndmask_b32_e32 v7, v2, v8, vcc_lo
	v_mov_b32_e32 v8, v1
.LBB0_6:                                ;   in Loop: Header=BB0_2 Depth=1
	s_or_b32 exec_lo, exec_lo, s0
	s_load_dwordx2 s[0:1], s[6:7], 0x0
	v_mul_lo_u32 v2, v8, s18
	v_mul_lo_u32 v11, v7, s19
	v_mad_u64_u32 v[9:10], null, v7, s18, 0
	s_add_u32 s16, s16, 1
	s_addc_u32 s17, s17, 0
	s_add_u32 s6, s6, 8
	s_addc_u32 s7, s7, 0
	;; [unrolled: 2-line block ×3, first 2 shown]
	v_add3_u32 v2, v10, v11, v2
	v_sub_co_u32 v5, vcc_lo, v5, v9
	v_sub_co_ci_u32_e32 v2, vcc_lo, v6, v2, vcc_lo
	s_waitcnt lgkmcnt(0)
	v_mul_lo_u32 v6, s1, v5
	v_mul_lo_u32 v2, s0, v2
	v_mad_u64_u32 v[3:4], null, s0, v5, v[3:4]
	v_cmp_ge_u64_e64 s0, s[16:17], s[10:11]
	s_and_b32 vcc_lo, exec_lo, s0
	v_add3_u32 v4, v6, v4, v2
	s_cbranch_vccnz .LBB0_8
; %bb.7:                                ;   in Loop: Header=BB0_2 Depth=1
	v_mov_b32_e32 v5, v7
	v_mov_b32_e32 v6, v8
	s_branch .LBB0_2
.LBB0_8:
	s_lshl_b64 s[0:1], s[10:11], 3
                                        ; implicit-def: $vgpr10_vgpr11
                                        ; implicit-def: $vgpr28_vgpr29
                                        ; implicit-def: $vgpr18_vgpr19
                                        ; implicit-def: $vgpr32_vgpr33
                                        ; implicit-def: $vgpr24_vgpr25
                                        ; implicit-def: $vgpr40_vgpr41
                                        ; implicit-def: $vgpr48_vgpr49
                                        ; implicit-def: $vgpr52_vgpr53
                                        ; implicit-def: $vgpr56_vgpr57
                                        ; implicit-def: $vgpr60_vgpr61
                                        ; implicit-def: $vgpr64_vgpr65
                                        ; implicit-def: $vgpr44_vgpr45
                                        ; implicit-def: $vgpr36_vgpr37
                                        ; implicit-def: $vgpr14_vgpr15
	s_add_u32 s0, s12, s0
	s_addc_u32 s1, s13, s1
	s_load_dwordx2 s[0:1], s[0:1], 0x0
	s_load_dwordx2 s[4:5], s[4:5], 0x20
	s_waitcnt lgkmcnt(0)
	v_mul_lo_u32 v5, s0, v8
	v_mul_lo_u32 v6, s1, v7
	v_mad_u64_u32 v[1:2], null, s0, v7, v[3:4]
	v_mul_hi_u32 v3, 0xf0f0f10, v0
	v_cmp_gt_u64_e32 vcc_lo, s[4:5], v[7:8]
	v_add3_u32 v2, v6, v2, v5
                                        ; implicit-def: $vgpr6_vgpr7
	v_mul_u32_u24_e32 v3, 17, v3
	v_lshlrev_b64 v[76:77], 4, v[1:2]
	v_sub_nc_u32_e32 v74, v0, v3
                                        ; implicit-def: $vgpr2_vgpr3
	s_and_saveexec_b32 s1, vcc_lo
; %bb.9:
	v_mov_b32_e32 v75, 0
	v_add_co_u32 v2, s0, s2, v76
	v_add_co_ci_u32_e64 v3, s0, s3, v77, s0
	v_lshlrev_b64 v[0:1], 4, v[74:75]
	v_add_co_u32 v21, s0, v2, v0
	v_add_co_ci_u32_e64 v22, s0, v3, v1, s0
	s_clause 0x3
	global_load_dwordx4 v[12:15], v[21:22], off
	global_load_dwordx4 v[0:3], v[21:22], off offset:272
	global_load_dwordx4 v[8:11], v[21:22], off offset:544
	;; [unrolled: 1-line block ×3, first 2 shown]
	v_add_co_u32 v62, s0, 0x800, v21
	v_add_co_ci_u32_e64 v63, s0, 0, v22, s0
	s_clause 0xb
	global_load_dwordx4 v[16:19], v[21:22], off offset:1088
	global_load_dwordx4 v[4:7], v[21:22], off offset:1360
	;; [unrolled: 1-line block ×12, first 2 shown]
; %bb.10:
	s_or_b32 exec_lo, exec_lo, s1
	s_waitcnt vmcnt(6)
	v_add_f64 v[66:67], v[0:1], -v[42:43]
	s_waitcnt vmcnt(2)
	v_add_f64 v[56:57], v[6:7], -v[56:57]
	v_add_f64 v[46:47], v[26:27], -v[46:47]
	v_add_f64 v[38:39], v[8:9], -v[38:39]
	v_add_f64 v[21:22], v[12:13], -v[22:23]
	v_add_f64 v[42:43], v[18:19], -v[52:53]
	s_waitcnt vmcnt(1)
	v_add_f64 v[52:53], v[36:37], -v[60:61]
	s_waitcnt vmcnt(0)
	v_add_f64 v[60:61], v[32:33], -v[64:65]
	v_add_f64 v[54:55], v[4:5], -v[54:55]
	;; [unrolled: 1-line block ×8, first 2 shown]
	s_mov_b32 s0, 0x667f3bcd
	s_mov_b32 s1, 0x3fe6a09e
	;; [unrolled: 1-line block ×7, first 2 shown]
	v_fma_f64 v[0:1], v[0:1], 2.0, -v[66:67]
	v_add_f64 v[72:73], v[56:57], v[66:67]
	v_fma_f64 v[26:27], v[26:27], 2.0, -v[46:47]
	v_fma_f64 v[8:9], v[8:9], 2.0, -v[38:39]
	;; [unrolled: 1-line block ×3, first 2 shown]
	v_add_f64 v[78:79], v[42:43], v[21:22]
	v_add_f64 v[80:81], v[38:39], v[52:53]
	;; [unrolled: 1-line block ×3, first 2 shown]
	v_fma_f64 v[4:5], v[4:5], 2.0, -v[54:55]
	v_add_f64 v[54:55], v[44:45], -v[54:55]
	v_fma_f64 v[28:29], v[28:29], 2.0, -v[68:69]
	v_add_f64 v[82:83], v[68:69], -v[62:63]
	v_fma_f64 v[62:63], v[30:31], 2.0, -v[62:63]
	v_fma_f64 v[32:33], v[32:33], 2.0, -v[60:61]
	v_fma_f64 v[30:31], v[10:11], 2.0, -v[40:41]
	v_fma_f64 v[10:11], v[12:13], 2.0, -v[21:22]
	v_fma_f64 v[12:13], v[16:17], 2.0, -v[48:49]
	v_fma_f64 v[16:17], v[36:37], 2.0, -v[52:53]
	v_fma_f64 v[34:35], v[34:35], 2.0, -v[50:51]
	v_add_f64 v[84:85], v[40:41], -v[50:51]
	v_fma_f64 v[2:3], v[2:3], 2.0, -v[44:45]
	s_mov_b32 s11, 0x3fd87de2
	s_mov_b32 s13, 0x3fed906b
	v_fma_f64 v[50:51], v[66:67], 2.0, -v[72:73]
	s_mov_b32 s7, 0xbfd87de2
	s_mov_b32 s12, s4
	;; [unrolled: 1-line block ×3, first 2 shown]
	v_fma_f64 v[21:22], v[21:22], 2.0, -v[78:79]
	v_fma_f64 v[38:39], v[38:39], 2.0, -v[80:81]
	;; [unrolled: 1-line block ×3, first 2 shown]
	v_fma_f64 v[36:37], v[58:59], s[0:1], v[72:73]
	v_add_f64 v[4:5], v[0:1], -v[4:5]
	v_fma_f64 v[44:45], v[44:45], 2.0, -v[54:55]
	v_fma_f64 v[66:67], v[82:83], s[0:1], v[54:55]
	v_add_f64 v[56:57], v[26:27], -v[62:63]
	v_add_f64 v[60:61], v[28:29], -v[32:33]
	v_fma_f64 v[32:33], v[80:81], s[0:1], v[78:79]
	v_mul_hi_u32 v23, 0x24924925, v20
	v_add_f64 v[12:13], v[10:11], -v[12:13]
	v_add_f64 v[64:65], v[30:31], -v[16:17]
	;; [unrolled: 1-line block ×3, first 2 shown]
	v_fma_f64 v[34:35], v[68:69], 2.0, -v[82:83]
	v_fma_f64 v[40:41], v[40:41], 2.0, -v[84:85]
	v_add_f64 v[6:7], v[2:3], -v[6:7]
	v_mul_f64 v[86:87], v[80:81], s[0:1]
	v_mul_f64 v[88:89], v[84:85], s[0:1]
	v_lshl_add_u32 v94, v74, 7, 0
	v_fma_f64 v[52:53], v[38:39], s[14:15], v[21:22]
	v_fma_f64 v[62:63], v[46:47], s[14:15], v[50:51]
	;; [unrolled: 1-line block ×3, first 2 shown]
	v_fma_f64 v[0:1], v[0:1], 2.0, -v[4:5]
	v_fma_f64 v[26:27], v[26:27], 2.0, -v[56:57]
	v_add_f64 v[95:96], v[60:61], v[4:5]
	v_fma_f64 v[92:93], v[84:85], s[0:1], v[32:33]
	v_fma_f64 v[28:29], v[28:29], 2.0, -v[60:61]
	v_fma_f64 v[10:11], v[10:11], 2.0, -v[12:13]
	v_add_f64 v[82:83], v[64:65], v[12:13]
	v_fma_f64 v[8:9], v[8:9], 2.0, -v[70:71]
	v_fma_f64 v[68:69], v[34:35], s[14:15], v[44:45]
	v_mul_f64 v[84:85], v[38:39], s[0:1]
	v_add_f64 v[99:100], v[6:7], -v[56:57]
	v_mul_f64 v[90:91], v[40:41], s[0:1]
	v_fma_f64 v[97:98], v[40:41], s[0:1], v[52:53]
	v_fma_f64 v[32:33], v[34:35], s[0:1], v[62:63]
	;; [unrolled: 1-line block ×3, first 2 shown]
	v_fma_f64 v[58:59], v[2:3], 2.0, -v[6:7]
	v_fma_f64 v[36:37], v[72:73], 2.0, -v[16:17]
	v_add_f64 v[34:35], v[0:1], -v[26:27]
	v_fma_f64 v[4:5], v[4:5], 2.0, -v[95:96]
	v_fma_f64 v[78:79], v[78:79], 2.0, -v[92:93]
	v_sub_nc_u32_e32 v26, v20, v23
	v_fma_f64 v[101:102], v[12:13], 2.0, -v[82:83]
	v_add_f64 v[8:9], v[10:11], -v[8:9]
	v_fma_f64 v[60:61], v[46:47], s[14:15], v[68:69]
	v_fma_f64 v[2:3], v[95:96], s[0:1], v[82:83]
	;; [unrolled: 1-line block ×3, first 2 shown]
	v_fma_f64 v[103:104], v[6:7], 2.0, -v[99:100]
	v_fma_f64 v[46:47], v[21:22], 2.0, -v[97:98]
	;; [unrolled: 1-line block ×4, first 2 shown]
	v_add_f64 v[66:67], v[58:59], -v[28:29]
	v_fma_f64 v[56:57], v[32:33], s[10:11], v[97:98]
	v_fma_f64 v[54:55], v[0:1], 2.0, -v[34:35]
	v_lshrrev_b32_e32 v0, 1, v26
	v_fma_f64 v[21:22], v[36:37], s[6:7], v[78:79]
	v_fma_f64 v[6:7], v[4:5], s[14:15], v[101:102]
	v_fma_f64 v[72:73], v[10:11], 2.0, -v[8:9]
	v_fma_f64 v[68:69], v[44:45], 2.0, -v[60:61]
	v_add_nc_u32_e32 v0, v0, v23
	v_mul_f64 v[80:81], v[103:104], s[0:1]
	v_lshrrev_b32_e32 v23, 2, v0
	v_fma_f64 v[0:1], v[99:100], s[0:1], v[2:3]
	v_fma_f64 v[2:3], v[52:53], s[10:11], v[12:13]
	;; [unrolled: 1-line block ×3, first 2 shown]
	v_add_f64 v[10:11], v[66:67], v[8:9]
	v_fma_f64 v[12:13], v[60:61], s[12:13], v[56:57]
	v_fma_f64 v[28:29], v[62:63], s[12:13], v[21:22]
	;; [unrolled: 1-line block ×3, first 2 shown]
	v_add_f64 v[54:55], v[72:73], -v[54:55]
	v_mul_lo_u32 v6, v23, 7
	v_fma_f64 v[38:39], v[82:83], 2.0, -v[0:1]
	v_sub_nc_u32_e32 v75, v20, v6
	v_fma_f64 v[40:41], v[92:93], 2.0, -v[2:3]
	v_fma_f64 v[56:57], v[68:69], s[10:11], v[44:45]
	v_mul_f64 v[82:83], v[99:100], s[0:1]
	v_fma_f64 v[20:21], v[8:9], 2.0, -v[10:11]
	v_fma_f64 v[22:23], v[97:98], 2.0, -v[12:13]
	;; [unrolled: 1-line block ×3, first 2 shown]
	v_mul_f64 v[78:79], v[95:96], s[0:1]
	v_fma_f64 v[6:7], v[101:102], 2.0, -v[26:27]
	v_fma_f64 v[44:45], v[72:73], 2.0, -v[54:55]
	v_mul_f64 v[72:73], v[4:5], s[0:1]
	v_mul_u32_u24_e32 v4, 0x110, v75
	v_cmp_gt_u32_e64 s0, 16, v74
	v_lshlrev_b32_e32 v75, 3, v74
	v_lshl_add_u32 v93, v4, 3, v94
	v_lshlrev_b32_e32 v92, 3, v4
                                        ; implicit-def: $vgpr4_vgpr5
	v_fma_f64 v[46:47], v[46:47], 2.0, -v[56:57]
	ds_write_b128 v93, v[0:3] offset:112
	ds_write_b128 v93, v[38:41] offset:48
	;; [unrolled: 1-line block ×7, first 2 shown]
	ds_write_b128 v93, v[44:47]
	s_waitcnt lgkmcnt(0)
	s_barrier
	buffer_gl0_inv
	s_and_saveexec_b32 s1, s0
	s_cbranch_execz .LBB0_12
; %bb.11:
	v_mul_i32_i24_e32 v0, 0xffffff88, v74
	v_add3_u32 v0, v94, v0, v92
	ds_read2_b64 v[6:9], v0 offset0:16 offset1:32
	ds_read2_b64 v[10:13], v0 offset0:48 offset1:64
	;; [unrolled: 1-line block ×6, first 2 shown]
	v_add_nc_u32_e32 v1, 0x400, v0
	ds_read2_b64 v[106:109], v0 offset0:208 offset1:224
	ds_read2_b64 v[2:5], v1 offset0:112 offset1:128
	v_add3_u32 v0, 0, v92, v75
	ds_read_b64 v[44:45], v0
	s_waitcnt lgkmcnt(8)
	v_mov_b32_e32 v47, v7
	v_mov_b32_e32 v46, v6
	;; [unrolled: 1-line block ×4, first 2 shown]
	s_waitcnt lgkmcnt(7)
	v_mov_b32_e32 v8, v10
	v_mov_b32_e32 v21, v13
	s_waitcnt lgkmcnt(5)
	v_mov_b32_e32 v41, v27
	v_mov_b32_e32 v55, v29
	;; [unrolled: 1-line block ×7, first 2 shown]
	s_waitcnt lgkmcnt(4)
	v_mov_b32_e32 v26, v100
	s_waitcnt lgkmcnt(3)
	v_mov_b32_e32 v28, v102
	v_mov_b32_e32 v10, v104
	s_waitcnt lgkmcnt(2)
	v_mov_b32_e32 v12, v106
	v_mov_b32_e32 v0, v108
	;; [unrolled: 1-line block ×12, first 2 shown]
.LBB0_12:
	s_or_b32 exec_lo, exec_lo, s1
	v_add_f64 v[24:25], v[14:15], -v[24:25]
	v_fma_f64 v[18:19], v[18:19], 2.0, -v[42:43]
	v_fma_f64 v[30:31], v[30:31], 2.0, -v[64:65]
	;; [unrolled: 1-line block ×3, first 2 shown]
	s_waitcnt lgkmcnt(0)
	s_barrier
	buffer_gl0_inv
	v_add_f64 v[48:49], v[24:25], -v[48:49]
	v_fma_f64 v[14:15], v[14:15], 2.0, -v[24:25]
	v_fma_f64 v[24:25], v[24:25], 2.0, -v[48:49]
	v_add_f64 v[18:19], v[14:15], -v[18:19]
	v_add_f64 v[42:43], v[48:49], v[88:89]
	v_add_f64 v[88:89], v[24:25], -v[90:91]
	v_add_f64 v[90:91], v[18:19], -v[70:71]
	;; [unrolled: 1-line block ×3, first 2 shown]
	v_fma_f64 v[14:15], v[14:15], 2.0, -v[18:19]
	v_add_f64 v[84:85], v[88:89], -v[84:85]
	v_fma_f64 v[18:19], v[18:19], 2.0, -v[90:91]
	v_fma_f64 v[48:49], v[48:49], 2.0, -v[42:43]
	v_add_f64 v[30:31], v[14:15], -v[30:31]
	v_add_f64 v[64:65], v[82:83], v[90:91]
	v_fma_f64 v[52:53], v[52:53], s[12:13], v[42:43]
	v_fma_f64 v[24:25], v[24:25], 2.0, -v[84:85]
	v_add_f64 v[66:67], v[18:19], -v[80:81]
	v_fma_f64 v[70:71], v[62:63], s[6:7], v[48:49]
	v_fma_f64 v[60:61], v[60:61], s[10:11], v[84:85]
	v_fma_f64 v[80:81], v[14:15], 2.0, -v[30:31]
	v_add_f64 v[14:15], v[64:65], -v[78:79]
	v_fma_f64 v[16:17], v[16:17], s[6:7], v[52:53]
	v_add_f64 v[34:35], v[30:31], -v[34:35]
	v_fma_f64 v[68:69], v[68:69], s[4:5], v[24:25]
	;; [unrolled: 2-line block ×3, first 2 shown]
	v_fma_f64 v[36:37], v[32:33], s[4:5], v[60:61]
	v_add_f64 v[70:71], v[80:81], -v[58:59]
	v_fma_f64 v[66:67], v[90:91], 2.0, -v[14:15]
	v_fma_f64 v[58:59], v[30:31], 2.0, -v[34:35]
	v_fma_f64 v[72:73], v[50:51], s[6:7], v[68:69]
	v_fma_f64 v[68:69], v[42:43], 2.0, -v[16:17]
	v_fma_f64 v[30:31], v[18:19], 2.0, -v[62:63]
	;; [unrolled: 1-line block ×5, first 2 shown]
                                        ; implicit-def: $vgpr18_vgpr19
	v_fma_f64 v[52:53], v[24:25], 2.0, -v[72:73]
	ds_write_b128 v93, v[14:17] offset:112
	ds_write_b128 v93, v[66:69] offset:48
	;; [unrolled: 1-line block ×7, first 2 shown]
	ds_write_b128 v93, v[50:53]
	s_waitcnt lgkmcnt(0)
	s_barrier
	buffer_gl0_inv
	s_and_saveexec_b32 s1, s0
	s_cbranch_execnz .LBB0_15
; %bb.13:
	s_or_b32 exec_lo, exec_lo, s1
	s_and_b32 s0, vcc_lo, s0
	s_and_saveexec_b32 s1, s0
	s_cbranch_execnz .LBB0_16
.LBB0_14:
	s_endpgm
.LBB0_15:
	v_add3_u32 v14, 0, v75, v92
	ds_read2_b64 v[30:33], v14 offset0:112 offset1:128
	ds_read2_b64 v[58:61], v14 offset0:144 offset1:160
	;; [unrolled: 1-line block ×5, first 2 shown]
	v_add_nc_u32_e32 v15, 0x400, v14
	ds_read2_b64 v[86:89], v14 offset0:48 offset1:64
	ds_read2_b64 v[93:96], v14 offset0:16 offset1:32
	ds_read2_b64 v[16:19], v15 offset0:112 offset1:128
	v_add3_u32 v14, 0, v92, v75
	ds_read_b64 v[50:51], v14
	s_waitcnt lgkmcnt(8)
	v_mov_b32_e32 v69, v31
	v_mov_b32_e32 v71, v33
	s_waitcnt lgkmcnt(6)
	v_mov_b32_e32 v65, v35
	v_mov_b32_e32 v63, v61
	;; [unrolled: 1-line block ×9, first 2 shown]
	s_waitcnt lgkmcnt(5)
	v_mov_b32_e32 v36, v78
	v_mov_b32_e32 v14, v80
	;; [unrolled: 1-line block ×3, first 2 shown]
	s_waitcnt lgkmcnt(4)
	v_mov_b32_e32 v66, v84
	v_mov_b32_e32 v60, v82
	s_waitcnt lgkmcnt(3)
	v_mov_b32_e32 v58, v88
	v_mov_b32_e32 v32, v86
	;; [unrolled: 3-line block ×3, first 2 shown]
	v_mov_b32_e32 v37, v79
	v_mov_b32_e32 v15, v81
	;; [unrolled: 1-line block ×8, first 2 shown]
	s_or_b32 exec_lo, exec_lo, s1
	s_and_b32 s0, vcc_lo, s0
	s_and_saveexec_b32 s1, s0
	s_cbranch_execz .LBB0_14
.LBB0_16:
	v_lshlrev_b32_e32 v78, 4, v74
	v_mov_b32_e32 v79, 0
	s_mov_b32 s6, 0xacd6c6b4
	s_mov_b32 s7, 0xbfc7851a
	s_mov_b32 s24, 0x5d8e7cdc
	s_mov_b32 s0, 0x7faef3
	v_lshlrev_b64 v[24:25], 4, v[78:79]
	s_mov_b32 s25, 0x3fd71e95
	s_mov_b32 s1, 0xbfef7484
	;; [unrolled: 1-line block ×5, first 2 shown]
	v_add_co_u32 v24, vcc_lo, s8, v24
	v_add_co_ci_u32_e32 v25, vcc_lo, s9, v25, vcc_lo
	s_mov_b32 s21, 0xbfe0d888
	s_mov_b32 s8, 0x910ea3b9
	s_clause 0x2
	global_load_dwordx4 v[82:85], v[24:25], off offset:112
	global_load_dwordx4 v[86:89], v[24:25], off offset:96
	;; [unrolled: 1-line block ×3, first 2 shown]
	s_mov_b32 s9, 0xbfeb34fa
	s_mov_b32 s30, 0x2a9d6da3
	;; [unrolled: 1-line block ×35, first 2 shown]
	v_mov_b32_e32 v75, v79
	v_or_b32_e32 v78, 0x80, v74
	s_waitcnt vmcnt(2)
	v_mul_f64 v[42:43], v[70:71], v[84:85]
	v_fma_f64 v[80:81], v[54:55], v[82:83], v[42:43]
	v_mul_f64 v[42:43], v[54:55], v[84:85]
	v_fma_f64 v[82:83], v[70:71], v[82:83], -v[42:43]
	s_waitcnt vmcnt(0)
	v_mul_f64 v[42:43], v[72:73], v[92:93]
	v_fma_f64 v[70:71], v[56:57], v[90:91], v[42:43]
	v_mul_f64 v[42:43], v[56:57], v[92:93]
	v_add_f64 v[182:183], v[80:81], -v[70:71]
	v_fma_f64 v[72:73], v[72:73], v[90:91], -v[42:43]
	v_mul_f64 v[42:43], v[68:69], v[88:89]
	v_add_f64 v[164:165], v[80:81], v[70:71]
	v_mul_f64 v[196:197], v[182:183], s[22:23]
	v_add_f64 v[186:187], v[82:83], -v[72:73]
	v_fma_f64 v[84:85], v[40:41], v[86:87], v[42:43]
	v_mul_f64 v[40:41], v[40:41], v[88:89]
	v_add_f64 v[162:163], v[82:83], v[72:73]
	v_mul_f64 v[204:205], v[182:183], s[30:31]
	v_mul_f64 v[212:213], v[182:183], s[20:21]
	;; [unrolled: 1-line block ×5, first 2 shown]
	v_fma_f64 v[68:69], v[68:69], v[86:87], -v[40:41]
	s_clause 0x1
	global_load_dwordx4 v[40:43], v[24:25], off offset:80
	global_load_dwordx4 v[54:57], v[24:25], off offset:64
	v_mul_f64 v[214:215], v[186:187], s[20:21]
	v_mul_f64 v[222:223], v[186:187], s[24:25]
	s_waitcnt vmcnt(1)
	v_mul_f64 v[48:49], v[66:67], v[42:43]
	v_fma_f64 v[86:87], v[38:39], v[40:41], v[48:49]
	v_mul_f64 v[38:39], v[38:39], v[42:43]
	v_mul_f64 v[48:49], v[182:183], s[26:27]
	v_fma_f64 v[94:95], v[66:67], v[40:41], -v[38:39]
	global_load_dwordx4 v[38:41], v[24:25], off offset:144
	s_waitcnt vmcnt(0)
	v_mul_f64 v[42:43], v[62:63], v[40:41]
	v_fma_f64 v[88:89], v[26:27], v[38:39], v[42:43]
	v_mul_f64 v[26:27], v[26:27], v[40:41]
	v_add_f64 v[192:193], v[84:85], -v[88:89]
	v_fma_f64 v[90:91], v[62:63], v[38:39], -v[26:27]
	global_load_dwordx4 v[38:41], v[24:25], off offset:160
	v_add_f64 v[160:161], v[84:85], v[88:89]
	v_add_f64 v[158:159], v[68:69], v[90:91]
	v_add_f64 v[180:181], v[68:69], -v[90:91]
	s_waitcnt vmcnt(0)
	v_mul_f64 v[26:27], v[64:65], v[40:41]
	v_fma_f64 v[92:93], v[28:29], v[38:39], v[26:27]
	v_mul_f64 v[26:27], v[28:29], v[40:41]
	v_add_f64 v[190:191], v[86:87], -v[92:93]
	v_fma_f64 v[96:97], v[64:65], v[38:39], -v[26:27]
	v_mul_f64 v[26:27], v[60:61], v[56:57]
	v_add_f64 v[156:157], v[86:87], v[92:93]
	v_add_f64 v[154:155], v[94:95], v[96:97]
	v_fma_f64 v[98:99], v[22:23], v[54:55], v[26:27]
	s_clause 0x1
	global_load_dwordx4 v[26:29], v[24:25], off offset:48
	global_load_dwordx4 v[38:41], v[24:25], off offset:32
	v_mul_f64 v[22:23], v[22:23], v[56:57]
	v_add_f64 v[176:177], v[94:95], -v[96:97]
	v_fma_f64 v[100:101], v[60:61], v[54:55], -v[22:23]
	v_mul_f64 v[60:61], v[186:187], s[28:29]
	s_waitcnt vmcnt(1)
	v_mul_f64 v[22:23], v[58:59], v[28:29]
	v_fma_f64 v[102:103], v[20:21], v[26:27], v[22:23]
	v_mul_f64 v[20:21], v[20:21], v[28:29]
	v_fma_f64 v[110:111], v[58:59], v[26:27], -v[20:21]
	global_load_dwordx4 v[20:23], v[24:25], off offset:176
	v_mul_f64 v[58:59], v[182:183], s[28:29]
	s_waitcnt vmcnt(0)
	v_mul_f64 v[26:27], v[34:35], v[22:23]
	v_fma_f64 v[104:105], v[10:11], v[20:21], v[26:27]
	v_mul_f64 v[10:11], v[10:11], v[22:23]
	v_add_f64 v[188:189], v[98:99], -v[104:105]
	v_fma_f64 v[106:107], v[34:35], v[20:21], -v[10:11]
	global_load_dwordx4 v[20:23], v[24:25], off offset:192
	v_add_f64 v[152:153], v[98:99], v[104:105]
	v_add_f64 v[150:151], v[100:101], v[106:107]
	v_add_f64 v[174:175], v[100:101], -v[106:107]
	s_waitcnt vmcnt(0)
	v_mul_f64 v[10:11], v[36:37], v[22:23]
	v_fma_f64 v[108:109], v[12:13], v[20:21], v[10:11]
	v_mul_f64 v[10:11], v[12:13], v[22:23]
	v_add_f64 v[184:185], v[102:103], -v[108:109]
	v_fma_f64 v[112:113], v[36:37], v[20:21], -v[10:11]
	v_mul_f64 v[10:11], v[32:33], v[40:41]
	v_add_f64 v[148:149], v[102:103], v[108:109]
	v_add_f64 v[144:145], v[110:111], v[112:113]
	v_fma_f64 v[114:115], v[8:9], v[38:39], v[10:11]
	v_mul_f64 v[8:9], v[8:9], v[40:41]
	v_add_f64 v[172:173], v[110:111], -v[112:113]
	v_mul_f64 v[40:41], v[186:187], s[38:39]
	v_fma_f64 v[116:117], v[32:33], v[38:39], -v[8:9]
	s_clause 0x1
	global_load_dwordx4 v[8:11], v[24:25], off offset:16
	global_load_dwordx4 v[20:23], v[24:25], off
	v_mul_f64 v[38:39], v[182:183], s[38:39]
	v_mul_f64 v[182:183], v[182:183], s[6:7]
	s_waitcnt vmcnt(1)
	v_mul_f64 v[12:13], v[30:31], v[10:11]
	v_fma_f64 v[120:121], v[6:7], v[8:9], v[12:13]
	v_mul_f64 v[6:7], v[6:7], v[10:11]
	v_fma_f64 v[128:129], v[30:31], v[8:9], -v[6:7]
	global_load_dwordx4 v[6:9], v[24:25], off offset:208
	s_waitcnt vmcnt(0)
	v_mul_f64 v[10:11], v[14:15], v[8:9]
	v_fma_f64 v[118:119], v[0:1], v[6:7], v[10:11]
	v_mul_f64 v[0:1], v[0:1], v[8:9]
	v_add_f64 v[178:179], v[114:115], -v[118:119]
	v_fma_f64 v[122:123], v[14:15], v[6:7], -v[0:1]
	global_load_dwordx4 v[6:9], v[24:25], off offset:224
	v_add_f64 v[142:143], v[114:115], v[118:119]
	v_add_f64 v[140:141], v[116:117], v[122:123]
	v_add_f64 v[170:171], v[116:117], -v[122:123]
	s_waitcnt vmcnt(0) lgkmcnt(1)
	v_mul_f64 v[0:1], v[16:17], v[8:9]
	v_fma_f64 v[124:125], v[2:3], v[6:7], v[0:1]
	v_mul_f64 v[0:1], v[2:3], v[8:9]
	v_add_f64 v[34:35], v[120:121], -v[124:125]
	v_fma_f64 v[126:127], v[16:17], v[6:7], -v[0:1]
	global_load_dwordx4 v[0:3], v[24:25], off offset:240
	v_add_f64 v[138:139], v[120:121], v[124:125]
	v_add_f64 v[134:135], v[128:129], v[126:127]
	v_add_f64 v[168:169], v[128:129], -v[126:127]
	v_mul_f64 v[10:11], v[168:169], s[24:25]
	v_fma_f64 v[12:13], v[138:139], s[4:5], -v[10:11]
	s_waitcnt vmcnt(0)
	v_mul_f64 v[6:7], v[18:19], v[2:3]
	v_mul_f64 v[2:3], v[4:5], v[2:3]
	v_fma_f64 v[130:131], v[4:5], v[0:1], v[6:7]
	v_fma_f64 v[132:133], v[18:19], v[0:1], -v[2:3]
	v_mul_f64 v[0:1], v[52:53], v[22:23]
	v_mul_f64 v[6:7], v[34:35], s[24:25]
	v_fma_f64 v[64:65], v[46:47], v[20:21], v[0:1]
	v_mul_f64 v[0:1], v[46:47], v[22:23]
	v_fma_f64 v[2:3], v[134:135], s[4:5], v[6:7]
	v_fma_f64 v[6:7], v[134:135], s[4:5], -v[6:7]
	v_add_f64 v[32:33], v[64:65], -v[130:131]
	v_fma_f64 v[66:67], v[52:53], v[20:21], -v[0:1]
	v_add_f64 v[146:147], v[64:65], v[130:131]
	v_mul_f64 v[52:53], v[186:187], s[26:27]
	v_mul_f64 v[186:187], v[186:187], s[6:7]
	;; [unrolled: 1-line block ×3, first 2 shown]
	v_add_f64 v[136:137], v[66:67], v[132:133]
	v_add_f64 v[166:167], v[66:67], -v[132:133]
	v_fma_f64 v[0:1], v[136:137], s[0:1], v[4:5]
	v_mul_f64 v[8:9], v[166:167], s[6:7]
	v_fma_f64 v[4:5], v[136:137], s[0:1], -v[4:5]
	s_waitcnt lgkmcnt(0)
	v_add_f64 v[0:1], v[50:51], v[0:1]
	v_add_f64 v[4:5], v[50:51], v[4:5]
	;; [unrolled: 1-line block ×3, first 2 shown]
	v_fma_f64 v[2:3], v[146:147], s[0:1], -v[8:9]
	v_add_f64 v[4:5], v[6:7], v[4:5]
	v_fma_f64 v[6:7], v[146:147], s[0:1], v[8:9]
	v_fma_f64 v[8:9], v[138:139], s[4:5], v[10:11]
	;; [unrolled: 1-line block ×3, first 2 shown]
	v_add_f64 v[2:3], v[44:45], v[2:3]
	v_add_f64 v[6:7], v[44:45], v[6:7]
	;; [unrolled: 1-line block ×3, first 2 shown]
	v_mul_f64 v[12:13], v[178:179], s[20:21]
	v_add_f64 v[6:7], v[8:9], v[6:7]
	v_fma_f64 v[14:15], v[140:141], s[8:9], v[12:13]
	v_fma_f64 v[8:9], v[140:141], s[8:9], -v[12:13]
	v_mul_f64 v[12:13], v[32:33], s[20:21]
	v_add_f64 v[0:1], v[14:15], v[0:1]
	v_mul_f64 v[14:15], v[170:171], s[20:21]
	v_add_f64 v[4:5], v[8:9], v[4:5]
	v_fma_f64 v[16:17], v[142:143], s[8:9], -v[14:15]
	v_fma_f64 v[8:9], v[142:143], s[8:9], v[14:15]
	v_mul_f64 v[14:15], v[34:35], s[28:29]
	v_add_f64 v[2:3], v[16:17], v[2:3]
	v_mul_f64 v[16:17], v[184:185], s[30:31]
	v_add_f64 v[6:7], v[8:9], v[6:7]
	v_fma_f64 v[18:19], v[144:145], s[12:13], v[16:17]
	v_fma_f64 v[8:9], v[144:145], s[12:13], -v[16:17]
	v_mul_f64 v[16:17], v[166:167], s[20:21]
	v_add_f64 v[0:1], v[18:19], v[0:1]
	v_mul_f64 v[18:19], v[172:173], s[30:31]
	v_add_f64 v[4:5], v[8:9], v[4:5]
	v_fma_f64 v[20:21], v[148:149], s[12:13], -v[18:19]
	v_fma_f64 v[8:9], v[148:149], s[12:13], v[18:19]
	v_mul_f64 v[18:19], v[168:169], s[28:29]
	v_add_f64 v[2:3], v[20:21], v[2:3]
	v_mul_f64 v[20:21], v[188:189], s[22:23]
	v_add_f64 v[6:7], v[8:9], v[6:7]
	v_fma_f64 v[22:23], v[150:151], s[10:11], v[20:21]
	v_fma_f64 v[8:9], v[150:151], s[10:11], -v[20:21]
	v_fma_f64 v[20:21], v[138:139], s[14:15], -v[18:19]
	v_add_f64 v[0:1], v[22:23], v[0:1]
	v_mul_f64 v[22:23], v[174:175], s[22:23]
	v_add_f64 v[4:5], v[8:9], v[4:5]
	v_fma_f64 v[24:25], v[152:153], s[10:11], -v[22:23]
	v_fma_f64 v[8:9], v[152:153], s[10:11], v[22:23]
	v_add_f64 v[2:3], v[24:25], v[2:3]
	v_mul_f64 v[24:25], v[190:191], s[28:29]
	v_add_f64 v[6:7], v[8:9], v[6:7]
	v_fma_f64 v[26:27], v[154:155], s[14:15], v[24:25]
	v_fma_f64 v[8:9], v[154:155], s[14:15], -v[24:25]
	v_add_f64 v[0:1], v[26:27], v[0:1]
	v_mul_f64 v[26:27], v[176:177], s[28:29]
	v_add_f64 v[4:5], v[8:9], v[4:5]
	v_fma_f64 v[28:29], v[156:157], s[14:15], -v[26:27]
	v_fma_f64 v[8:9], v[156:157], s[14:15], v[26:27]
	v_add_f64 v[2:3], v[28:29], v[2:3]
	v_mul_f64 v[28:29], v[192:193], s[26:27]
	v_add_f64 v[6:7], v[8:9], v[6:7]
	v_fma_f64 v[30:31], v[158:159], s[16:17], v[28:29]
	v_fma_f64 v[8:9], v[158:159], s[16:17], -v[28:29]
	v_add_f64 v[0:1], v[30:31], v[0:1]
	v_mul_f64 v[30:31], v[180:181], s[26:27]
	v_add_f64 v[4:5], v[8:9], v[4:5]
	v_fma_f64 v[8:9], v[160:161], s[16:17], v[30:31]
	v_fma_f64 v[36:37], v[160:161], s[16:17], -v[30:31]
	v_add_f64 v[8:9], v[8:9], v[6:7]
	v_fma_f64 v[6:7], v[162:163], s[18:19], -v[38:39]
	v_add_f64 v[36:37], v[36:37], v[2:3]
	v_fma_f64 v[2:3], v[162:163], s[18:19], v[38:39]
	v_add_f64 v[6:7], v[6:7], v[4:5]
	v_add_f64 v[4:5], v[10:11], v[8:9]
	v_fma_f64 v[8:9], v[136:137], s[8:9], v[12:13]
	v_fma_f64 v[10:11], v[134:135], s[14:15], v[14:15]
	v_fma_f64 v[12:13], v[136:137], s[8:9], -v[12:13]
	v_fma_f64 v[14:15], v[134:135], s[14:15], -v[14:15]
	v_add_f64 v[2:3], v[2:3], v[0:1]
	v_fma_f64 v[0:1], v[164:165], s[18:19], -v[40:41]
	v_add_f64 v[8:9], v[50:51], v[8:9]
	v_add_f64 v[12:13], v[50:51], v[12:13]
	;; [unrolled: 1-line block ×4, first 2 shown]
	v_fma_f64 v[10:11], v[146:147], s[8:9], -v[16:17]
	v_add_f64 v[12:13], v[14:15], v[12:13]
	v_fma_f64 v[14:15], v[146:147], s[8:9], v[16:17]
	v_fma_f64 v[16:17], v[138:139], s[14:15], v[18:19]
	;; [unrolled: 1-line block ×3, first 2 shown]
	v_add_f64 v[10:11], v[44:45], v[10:11]
	v_add_f64 v[14:15], v[44:45], v[14:15]
	v_add_f64 v[10:11], v[20:21], v[10:11]
	v_mul_f64 v[20:21], v[178:179], s[34:35]
	v_add_f64 v[14:15], v[16:17], v[14:15]
	v_fma_f64 v[22:23], v[140:141], s[18:19], v[20:21]
	v_fma_f64 v[16:17], v[140:141], s[18:19], -v[20:21]
	v_mul_f64 v[20:21], v[166:167], s[22:23]
	v_add_f64 v[8:9], v[22:23], v[8:9]
	v_mul_f64 v[22:23], v[170:171], s[34:35]
	v_add_f64 v[12:13], v[16:17], v[12:13]
	v_fma_f64 v[24:25], v[142:143], s[18:19], -v[22:23]
	v_fma_f64 v[16:17], v[142:143], s[18:19], v[22:23]
	v_mul_f64 v[22:23], v[168:169], s[42:43]
	v_add_f64 v[10:11], v[24:25], v[10:11]
	v_mul_f64 v[24:25], v[184:185], s[48:49]
	v_add_f64 v[14:15], v[16:17], v[14:15]
	v_fma_f64 v[26:27], v[144:145], s[10:11], v[24:25]
	v_fma_f64 v[16:17], v[144:145], s[10:11], -v[24:25]
	v_fma_f64 v[24:25], v[138:139], s[16:17], -v[22:23]
	v_add_f64 v[8:9], v[26:27], v[8:9]
	v_mul_f64 v[26:27], v[172:173], s[48:49]
	v_add_f64 v[12:13], v[16:17], v[12:13]
	v_fma_f64 v[28:29], v[148:149], s[10:11], -v[26:27]
	v_fma_f64 v[16:17], v[148:149], s[10:11], v[26:27]
	v_add_f64 v[10:11], v[28:29], v[10:11]
	v_mul_f64 v[28:29], v[188:189], s[36:37]
	v_add_f64 v[14:15], v[16:17], v[14:15]
	v_fma_f64 v[30:31], v[150:151], s[4:5], v[28:29]
	v_fma_f64 v[16:17], v[150:151], s[4:5], -v[28:29]
	v_add_f64 v[8:9], v[30:31], v[8:9]
	v_mul_f64 v[30:31], v[174:175], s[36:37]
	v_add_f64 v[12:13], v[16:17], v[12:13]
	v_fma_f64 v[36:37], v[152:153], s[4:5], -v[30:31]
	v_fma_f64 v[16:17], v[152:153], s[4:5], v[30:31]
	v_add_f64 v[10:11], v[36:37], v[10:11]
	v_mul_f64 v[36:37], v[190:191], s[6:7]
	v_add_f64 v[14:15], v[16:17], v[14:15]
	v_fma_f64 v[38:39], v[154:155], s[0:1], v[36:37]
	;; [unrolled: 10-line block ×3, first 2 shown]
	v_fma_f64 v[16:17], v[158:159], s[12:13], -v[40:41]
	v_add_f64 v[8:9], v[42:43], v[8:9]
	v_mul_f64 v[42:43], v[180:181], s[30:31]
	v_add_f64 v[12:13], v[16:17], v[12:13]
	v_fma_f64 v[16:17], v[160:161], s[12:13], v[42:43]
	v_fma_f64 v[46:47], v[160:161], s[12:13], -v[42:43]
	v_add_f64 v[14:15], v[16:17], v[14:15]
	v_fma_f64 v[16:17], v[162:163], s[16:17], -v[48:49]
	v_add_f64 v[46:47], v[46:47], v[10:11]
	v_fma_f64 v[10:11], v[162:163], s[16:17], v[48:49]
	v_add_f64 v[36:37], v[18:19], v[14:15]
	v_add_f64 v[38:39], v[16:17], v[12:13]
	v_mul_f64 v[16:17], v[32:33], s[22:23]
	v_mul_f64 v[18:19], v[34:35], s[42:43]
	v_add_f64 v[10:11], v[10:11], v[8:9]
	v_fma_f64 v[8:9], v[164:165], s[16:17], -v[52:53]
	v_fma_f64 v[12:13], v[136:137], s[10:11], v[16:17]
	v_fma_f64 v[14:15], v[134:135], s[16:17], v[18:19]
	v_fma_f64 v[16:17], v[136:137], s[10:11], -v[16:17]
	v_fma_f64 v[18:19], v[134:135], s[16:17], -v[18:19]
	v_add_f64 v[8:9], v[8:9], v[46:47]
	v_add_f64 v[12:13], v[50:51], v[12:13]
	;; [unrolled: 1-line block ×4, first 2 shown]
	v_fma_f64 v[14:15], v[146:147], s[10:11], -v[20:21]
	v_add_f64 v[16:17], v[18:19], v[16:17]
	v_fma_f64 v[18:19], v[146:147], s[10:11], v[20:21]
	v_fma_f64 v[20:21], v[138:139], s[16:17], v[22:23]
	;; [unrolled: 1-line block ×3, first 2 shown]
	v_add_f64 v[14:15], v[44:45], v[14:15]
	v_add_f64 v[18:19], v[44:45], v[18:19]
	;; [unrolled: 1-line block ×3, first 2 shown]
	v_mul_f64 v[24:25], v[178:179], s[36:37]
	v_add_f64 v[18:19], v[20:21], v[18:19]
	v_fma_f64 v[26:27], v[140:141], s[4:5], v[24:25]
	v_fma_f64 v[20:21], v[140:141], s[4:5], -v[24:25]
	v_mul_f64 v[24:25], v[166:167], s[26:27]
	v_add_f64 v[12:13], v[26:27], v[12:13]
	v_mul_f64 v[26:27], v[170:171], s[36:37]
	v_add_f64 v[16:17], v[20:21], v[16:17]
	v_fma_f64 v[28:29], v[142:143], s[4:5], -v[26:27]
	v_fma_f64 v[20:21], v[142:143], s[4:5], v[26:27]
	v_mul_f64 v[26:27], v[168:169], s[46:47]
	v_add_f64 v[14:15], v[28:29], v[14:15]
	v_mul_f64 v[28:29], v[184:185], s[20:21]
	v_add_f64 v[18:19], v[20:21], v[18:19]
	v_fma_f64 v[30:31], v[144:145], s[8:9], v[28:29]
	v_fma_f64 v[20:21], v[144:145], s[8:9], -v[28:29]
	v_fma_f64 v[28:29], v[138:139], s[8:9], -v[26:27]
	v_add_f64 v[12:13], v[30:31], v[12:13]
	v_mul_f64 v[30:31], v[172:173], s[20:21]
	v_add_f64 v[16:17], v[20:21], v[16:17]
	v_fma_f64 v[40:41], v[148:149], s[8:9], -v[30:31]
	v_fma_f64 v[20:21], v[148:149], s[8:9], v[30:31]
	v_add_f64 v[14:15], v[40:41], v[14:15]
	v_mul_f64 v[40:41], v[188:189], s[38:39]
	v_add_f64 v[18:19], v[20:21], v[18:19]
	v_fma_f64 v[42:43], v[150:151], s[18:19], v[40:41]
	v_fma_f64 v[20:21], v[150:151], s[18:19], -v[40:41]
	v_add_f64 v[12:13], v[42:43], v[12:13]
	v_mul_f64 v[42:43], v[174:175], s[38:39]
	v_add_f64 v[16:17], v[20:21], v[16:17]
	v_fma_f64 v[46:47], v[152:153], s[18:19], -v[42:43]
	v_fma_f64 v[20:21], v[152:153], s[18:19], v[42:43]
	v_add_f64 v[14:15], v[46:47], v[14:15]
	v_mul_f64 v[46:47], v[190:191], s[40:41]
	v_add_f64 v[18:19], v[20:21], v[18:19]
	v_fma_f64 v[48:49], v[154:155], s[12:13], v[46:47]
	;; [unrolled: 10-line block ×3, first 2 shown]
	v_fma_f64 v[20:21], v[158:159], s[0:1], -v[52:53]
	v_add_f64 v[12:13], v[54:55], v[12:13]
	v_mul_f64 v[54:55], v[180:181], s[6:7]
	v_add_f64 v[16:17], v[20:21], v[16:17]
	v_fma_f64 v[20:21], v[160:161], s[0:1], v[54:55]
	v_fma_f64 v[56:57], v[160:161], s[0:1], -v[54:55]
	v_add_f64 v[18:19], v[20:21], v[18:19]
	v_fma_f64 v[20:21], v[162:163], s[14:15], -v[58:59]
	v_add_f64 v[56:57], v[56:57], v[14:15]
	v_fma_f64 v[14:15], v[162:163], s[14:15], v[58:59]
	v_add_f64 v[40:41], v[22:23], v[18:19]
	v_add_f64 v[42:43], v[20:21], v[16:17]
	v_mul_f64 v[20:21], v[32:33], s[26:27]
	v_mul_f64 v[22:23], v[34:35], s[46:47]
	v_add_f64 v[14:15], v[14:15], v[12:13]
	v_fma_f64 v[12:13], v[164:165], s[14:15], -v[60:61]
	v_fma_f64 v[16:17], v[136:137], s[16:17], v[20:21]
	v_fma_f64 v[18:19], v[134:135], s[8:9], v[22:23]
	v_fma_f64 v[20:21], v[136:137], s[16:17], -v[20:21]
	v_fma_f64 v[22:23], v[134:135], s[8:9], -v[22:23]
	v_add_f64 v[12:13], v[12:13], v[56:57]
	v_add_f64 v[16:17], v[50:51], v[16:17]
	;; [unrolled: 1-line block ×4, first 2 shown]
	v_fma_f64 v[18:19], v[146:147], s[16:17], -v[24:25]
	v_add_f64 v[20:21], v[22:23], v[20:21]
	v_fma_f64 v[22:23], v[146:147], s[16:17], v[24:25]
	v_fma_f64 v[24:25], v[138:139], s[8:9], v[26:27]
	;; [unrolled: 1-line block ×3, first 2 shown]
	v_add_f64 v[18:19], v[44:45], v[18:19]
	v_add_f64 v[22:23], v[44:45], v[22:23]
	;; [unrolled: 1-line block ×3, first 2 shown]
	v_mul_f64 v[28:29], v[178:179], s[30:31]
	v_add_f64 v[22:23], v[24:25], v[22:23]
	v_fma_f64 v[30:31], v[140:141], s[12:13], v[28:29]
	v_fma_f64 v[24:25], v[140:141], s[12:13], -v[28:29]
	v_mul_f64 v[28:29], v[166:167], s[34:35]
	v_add_f64 v[16:17], v[30:31], v[16:17]
	v_mul_f64 v[30:31], v[170:171], s[30:31]
	v_add_f64 v[20:21], v[24:25], v[20:21]
	v_fma_f64 v[46:47], v[142:143], s[12:13], -v[30:31]
	v_fma_f64 v[24:25], v[142:143], s[12:13], v[30:31]
	v_mul_f64 v[30:31], v[168:169], s[6:7]
	v_add_f64 v[18:19], v[46:47], v[18:19]
	v_mul_f64 v[46:47], v[184:185], s[44:45]
	v_add_f64 v[22:23], v[24:25], v[22:23]
	v_fma_f64 v[48:49], v[144:145], s[14:15], v[46:47]
	v_fma_f64 v[24:25], v[144:145], s[14:15], -v[46:47]
	v_add_f64 v[16:17], v[48:49], v[16:17]
	v_mul_f64 v[48:49], v[172:173], s[44:45]
	v_add_f64 v[20:21], v[24:25], v[20:21]
	v_fma_f64 v[52:53], v[148:149], s[14:15], -v[48:49]
	v_fma_f64 v[24:25], v[148:149], s[14:15], v[48:49]
	v_add_f64 v[18:19], v[52:53], v[18:19]
	v_mul_f64 v[52:53], v[188:189], s[6:7]
	v_add_f64 v[22:23], v[24:25], v[22:23]
	v_fma_f64 v[54:55], v[150:151], s[0:1], v[52:53]
	v_fma_f64 v[24:25], v[150:151], s[0:1], -v[52:53]
	v_fma_f64 v[52:53], v[138:139], s[0:1], -v[30:31]
	v_add_f64 v[16:17], v[54:55], v[16:17]
	v_mul_f64 v[54:55], v[174:175], s[6:7]
	v_add_f64 v[20:21], v[24:25], v[20:21]
	v_fma_f64 v[56:57], v[152:153], s[0:1], -v[54:55]
	v_fma_f64 v[24:25], v[152:153], s[0:1], v[54:55]
	v_add_f64 v[18:19], v[56:57], v[18:19]
	v_mul_f64 v[56:57], v[190:191], s[38:39]
	v_add_f64 v[22:23], v[24:25], v[22:23]
	v_fma_f64 v[58:59], v[154:155], s[18:19], v[56:57]
	v_fma_f64 v[24:25], v[154:155], s[18:19], -v[56:57]
	v_add_f64 v[16:17], v[58:59], v[16:17]
	v_mul_f64 v[58:59], v[176:177], s[38:39]
	v_add_f64 v[20:21], v[24:25], v[20:21]
	s_mov_b32 s39, 0x3fc7851a
	s_mov_b32 s38, s6
	v_fma_f64 v[60:61], v[156:157], s[18:19], -v[58:59]
	v_fma_f64 v[24:25], v[156:157], s[18:19], v[58:59]
	v_add_f64 v[18:19], v[60:61], v[18:19]
	v_mul_f64 v[60:61], v[192:193], s[36:37]
	v_add_f64 v[22:23], v[24:25], v[22:23]
	v_fma_f64 v[62:63], v[158:159], s[4:5], v[60:61]
	v_fma_f64 v[24:25], v[158:159], s[4:5], -v[60:61]
	v_add_f64 v[16:17], v[62:63], v[16:17]
	v_mul_f64 v[62:63], v[180:181], s[36:37]
	v_add_f64 v[20:21], v[24:25], v[20:21]
	v_fma_f64 v[24:25], v[160:161], s[4:5], v[62:63]
	v_fma_f64 v[194:195], v[160:161], s[4:5], -v[62:63]
	v_add_f64 v[22:23], v[24:25], v[22:23]
	v_fma_f64 v[24:25], v[162:163], s[10:11], -v[196:197]
	v_add_f64 v[194:195], v[194:195], v[18:19]
	v_fma_f64 v[18:19], v[162:163], s[10:11], v[196:197]
	v_add_f64 v[46:47], v[26:27], v[22:23]
	v_add_f64 v[48:49], v[24:25], v[20:21]
	v_mul_f64 v[24:25], v[32:33], s[34:35]
	v_mul_f64 v[26:27], v[34:35], s[6:7]
	v_add_f64 v[18:19], v[18:19], v[16:17]
	v_fma_f64 v[16:17], v[164:165], s[10:11], -v[198:199]
	v_fma_f64 v[20:21], v[136:137], s[18:19], v[24:25]
	v_fma_f64 v[22:23], v[134:135], s[0:1], v[26:27]
	v_fma_f64 v[24:25], v[136:137], s[18:19], -v[24:25]
	v_fma_f64 v[26:27], v[134:135], s[0:1], -v[26:27]
	v_add_f64 v[16:17], v[16:17], v[194:195]
	v_add_f64 v[20:21], v[50:51], v[20:21]
	v_add_f64 v[24:25], v[50:51], v[24:25]
	v_add_f64 v[20:21], v[22:23], v[20:21]
	v_fma_f64 v[22:23], v[146:147], s[18:19], -v[28:29]
	v_add_f64 v[24:25], v[26:27], v[24:25]
	v_fma_f64 v[26:27], v[146:147], s[18:19], v[28:29]
	v_fma_f64 v[28:29], v[138:139], s[0:1], v[30:31]
	;; [unrolled: 1-line block ×3, first 2 shown]
	v_add_f64 v[22:23], v[44:45], v[22:23]
	v_add_f64 v[26:27], v[44:45], v[26:27]
	;; [unrolled: 1-line block ×3, first 2 shown]
	v_mul_f64 v[52:53], v[178:179], s[42:43]
	v_add_f64 v[26:27], v[28:29], v[26:27]
	v_fma_f64 v[54:55], v[140:141], s[16:17], v[52:53]
	v_fma_f64 v[28:29], v[140:141], s[16:17], -v[52:53]
	v_add_f64 v[20:21], v[54:55], v[20:21]
	v_mul_f64 v[54:55], v[170:171], s[42:43]
	v_add_f64 v[24:25], v[28:29], v[24:25]
	v_fma_f64 v[56:57], v[142:143], s[16:17], -v[54:55]
	v_fma_f64 v[28:29], v[142:143], s[16:17], v[54:55]
	v_add_f64 v[22:23], v[56:57], v[22:23]
	v_mul_f64 v[56:57], v[184:185], s[24:25]
	v_add_f64 v[26:27], v[28:29], v[26:27]
	v_fma_f64 v[58:59], v[144:145], s[4:5], v[56:57]
	v_fma_f64 v[28:29], v[144:145], s[4:5], -v[56:57]
	v_mul_f64 v[56:57], v[166:167], s[44:45]
	v_add_f64 v[20:21], v[58:59], v[20:21]
	v_mul_f64 v[58:59], v[172:173], s[24:25]
	v_add_f64 v[24:25], v[28:29], v[24:25]
	v_fma_f64 v[60:61], v[148:149], s[4:5], -v[58:59]
	v_fma_f64 v[28:29], v[148:149], s[4:5], v[58:59]
	v_mul_f64 v[58:59], v[168:169], s[22:23]
	v_add_f64 v[22:23], v[60:61], v[22:23]
	v_mul_f64 v[60:61], v[188:189], s[44:45]
	v_add_f64 v[26:27], v[28:29], v[26:27]
	v_fma_f64 v[62:63], v[150:151], s[14:15], v[60:61]
	v_fma_f64 v[28:29], v[150:151], s[14:15], -v[60:61]
	v_fma_f64 v[60:61], v[138:139], s[10:11], -v[58:59]
	v_add_f64 v[20:21], v[62:63], v[20:21]
	v_mul_f64 v[62:63], v[174:175], s[44:45]
	v_add_f64 v[24:25], v[28:29], v[24:25]
	v_fma_f64 v[194:195], v[152:153], s[14:15], -v[62:63]
	v_fma_f64 v[28:29], v[152:153], s[14:15], v[62:63]
	v_add_f64 v[22:23], v[194:195], v[22:23]
	v_mul_f64 v[194:195], v[190:191], s[20:21]
	v_add_f64 v[26:27], v[28:29], v[26:27]
	v_fma_f64 v[196:197], v[154:155], s[8:9], v[194:195]
	v_fma_f64 v[28:29], v[154:155], s[8:9], -v[194:195]
	v_add_f64 v[20:21], v[196:197], v[20:21]
	v_mul_f64 v[196:197], v[176:177], s[20:21]
	v_add_f64 v[24:25], v[28:29], v[24:25]
	v_fma_f64 v[198:199], v[156:157], s[8:9], -v[196:197]
	v_fma_f64 v[28:29], v[156:157], s[8:9], v[196:197]
	v_add_f64 v[22:23], v[198:199], v[22:23]
	v_mul_f64 v[198:199], v[192:193], s[48:49]
	v_add_f64 v[26:27], v[28:29], v[26:27]
	v_fma_f64 v[200:201], v[158:159], s[10:11], v[198:199]
	v_fma_f64 v[28:29], v[158:159], s[10:11], -v[198:199]
	v_add_f64 v[20:21], v[200:201], v[20:21]
	v_mul_f64 v[200:201], v[180:181], s[48:49]
	v_add_f64 v[24:25], v[28:29], v[24:25]
	v_fma_f64 v[28:29], v[160:161], s[10:11], v[200:201]
	v_fma_f64 v[202:203], v[160:161], s[10:11], -v[200:201]
	v_add_f64 v[26:27], v[28:29], v[26:27]
	v_fma_f64 v[28:29], v[162:163], s[12:13], -v[204:205]
	v_add_f64 v[202:203], v[202:203], v[22:23]
	v_fma_f64 v[22:23], v[162:163], s[12:13], v[204:205]
	v_add_f64 v[52:53], v[30:31], v[26:27]
	v_add_f64 v[54:55], v[28:29], v[24:25]
	v_mul_f64 v[28:29], v[32:33], s[44:45]
	v_mul_f64 v[30:31], v[34:35], s[22:23]
	v_add_f64 v[22:23], v[22:23], v[20:21]
	v_fma_f64 v[20:21], v[164:165], s[12:13], -v[206:207]
	v_fma_f64 v[24:25], v[136:137], s[14:15], v[28:29]
	v_fma_f64 v[26:27], v[134:135], s[10:11], v[30:31]
	v_fma_f64 v[28:29], v[136:137], s[14:15], -v[28:29]
	v_fma_f64 v[30:31], v[134:135], s[10:11], -v[30:31]
	v_add_f64 v[20:21], v[20:21], v[202:203]
	v_add_f64 v[24:25], v[50:51], v[24:25]
	;; [unrolled: 1-line block ×4, first 2 shown]
	v_fma_f64 v[26:27], v[146:147], s[14:15], -v[56:57]
	v_add_f64 v[28:29], v[30:31], v[28:29]
	v_add_f64 v[26:27], v[44:45], v[26:27]
	;; [unrolled: 1-line block ×3, first 2 shown]
	v_mul_f64 v[60:61], v[178:179], s[38:39]
	v_fma_f64 v[62:63], v[140:141], s[0:1], v[60:61]
	v_fma_f64 v[30:31], v[140:141], s[0:1], -v[60:61]
	v_fma_f64 v[60:61], v[164:165], s[8:9], v[214:215]
	v_add_f64 v[24:25], v[62:63], v[24:25]
	v_mul_f64 v[62:63], v[170:171], s[38:39]
	v_add_f64 v[28:29], v[30:31], v[28:29]
	v_fma_f64 v[194:195], v[142:143], s[0:1], -v[62:63]
	v_add_f64 v[26:27], v[194:195], v[26:27]
	v_mul_f64 v[194:195], v[184:185], s[42:43]
	v_fma_f64 v[196:197], v[144:145], s[16:17], v[194:195]
	v_fma_f64 v[30:31], v[144:145], s[16:17], -v[194:195]
	v_mul_f64 v[194:195], v[178:179], s[22:23]
	v_mul_f64 v[178:179], v[178:179], s[44:45]
	v_add_f64 v[24:25], v[196:197], v[24:25]
	v_mul_f64 v[196:197], v[172:173], s[42:43]
	v_add_f64 v[28:29], v[30:31], v[28:29]
	v_fma_f64 v[198:199], v[148:149], s[16:17], -v[196:197]
	v_add_f64 v[26:27], v[198:199], v[26:27]
	v_mul_f64 v[198:199], v[188:189], s[30:31]
	v_fma_f64 v[200:201], v[150:151], s[12:13], v[198:199]
	v_fma_f64 v[30:31], v[150:151], s[12:13], -v[198:199]
	v_mul_f64 v[198:199], v[188:189], s[46:47]
	v_mul_f64 v[188:189], v[188:189], s[26:27]
	v_add_f64 v[24:25], v[200:201], v[24:25]
	v_mul_f64 v[200:201], v[190:191], s[36:37]
	v_add_f64 v[28:29], v[30:31], v[28:29]
	v_fma_f64 v[202:203], v[154:155], s[4:5], v[200:201]
	v_fma_f64 v[30:31], v[154:155], s[4:5], -v[200:201]
	v_mul_f64 v[200:201], v[190:191], s[42:43]
	v_mul_f64 v[190:191], v[190:191], s[22:23]
	v_add_f64 v[24:25], v[202:203], v[24:25]
	v_mul_f64 v[202:203], v[192:193], s[34:35]
	v_add_f64 v[28:29], v[30:31], v[28:29]
	v_fma_f64 v[30:31], v[158:159], s[18:19], -v[202:203]
	v_fma_f64 v[204:205], v[158:159], s[18:19], v[202:203]
	v_mul_f64 v[202:203], v[192:193], s[28:29]
	v_mul_f64 v[192:193], v[192:193], s[20:21]
	v_add_f64 v[28:29], v[30:31], v[28:29]
	v_fma_f64 v[30:31], v[146:147], s[14:15], v[56:57]
	v_add_f64 v[24:25], v[204:205], v[24:25]
	v_mul_f64 v[204:205], v[174:175], s[30:31]
	v_fma_f64 v[56:57], v[138:139], s[10:11], v[58:59]
	v_add_f64 v[30:31], v[44:45], v[30:31]
	v_fma_f64 v[206:207], v[152:153], s[12:13], -v[204:205]
	v_add_f64 v[30:31], v[56:57], v[30:31]
	v_fma_f64 v[56:57], v[142:143], s[0:1], v[62:63]
	v_add_f64 v[26:27], v[206:207], v[26:27]
	v_mul_f64 v[206:207], v[176:177], s[36:37]
	v_mul_f64 v[62:63], v[34:35], s[34:35]
	v_add_f64 v[30:31], v[56:57], v[30:31]
	v_fma_f64 v[56:57], v[148:149], s[16:17], v[196:197]
	v_fma_f64 v[208:209], v[156:157], s[4:5], -v[206:207]
	v_mul_f64 v[196:197], v[184:185], s[6:7]
	v_mul_f64 v[184:185], v[184:185], s[34:35]
	v_add_f64 v[30:31], v[56:57], v[30:31]
	v_fma_f64 v[56:57], v[152:153], s[12:13], v[204:205]
	v_add_f64 v[26:27], v[208:209], v[26:27]
	v_mul_f64 v[208:209], v[180:181], s[34:35]
	v_mul_f64 v[204:205], v[166:167], s[40:41]
	;; [unrolled: 1-line block ×3, first 2 shown]
	v_add_f64 v[30:31], v[56:57], v[30:31]
	v_fma_f64 v[56:57], v[156:157], s[4:5], v[206:207]
	v_fma_f64 v[210:211], v[160:161], s[18:19], -v[208:209]
	v_mul_f64 v[206:207], v[168:169], s[34:35]
	v_mul_f64 v[168:169], v[168:169], s[40:41]
	v_add_f64 v[30:31], v[56:57], v[30:31]
	v_fma_f64 v[56:57], v[160:161], s[18:19], v[208:209]
	v_add_f64 v[210:211], v[210:211], v[26:27]
	v_fma_f64 v[26:27], v[162:163], s[8:9], v[212:213]
	v_fma_f64 v[208:209], v[138:139], s[18:19], -v[206:207]
	v_add_f64 v[30:31], v[56:57], v[30:31]
	v_fma_f64 v[56:57], v[162:163], s[8:9], -v[212:213]
	v_add_f64 v[26:27], v[26:27], v[24:25]
	;; [unrolled: 2-line block ×3, first 2 shown]
	v_add_f64 v[56:57], v[60:61], v[30:31]
	v_mul_f64 v[60:61], v[32:33], s[40:41]
	v_fma_f64 v[30:31], v[134:135], s[18:19], v[62:63]
	v_fma_f64 v[62:63], v[134:135], s[18:19], -v[62:63]
	v_add_f64 v[24:25], v[24:25], v[210:211]
	v_fma_f64 v[28:29], v[136:137], s[12:13], v[60:61]
	v_fma_f64 v[60:61], v[136:137], s[12:13], -v[60:61]
	v_add_f64 v[28:29], v[50:51], v[28:29]
	v_add_f64 v[60:61], v[50:51], v[60:61]
	;; [unrolled: 1-line block ×3, first 2 shown]
	v_fma_f64 v[30:31], v[140:141], s[10:11], v[194:195]
	v_add_f64 v[60:61], v[62:63], v[60:61]
	v_fma_f64 v[62:63], v[140:141], s[10:11], -v[194:195]
	v_fma_f64 v[194:195], v[138:139], s[18:19], v[206:207]
	v_add_f64 v[28:29], v[30:31], v[28:29]
	v_fma_f64 v[30:31], v[144:145], s[0:1], v[196:197]
	v_add_f64 v[60:61], v[62:63], v[60:61]
	v_fma_f64 v[62:63], v[144:145], s[0:1], -v[196:197]
	v_fma_f64 v[196:197], v[164:165], s[4:5], v[222:223]
	v_add_f64 v[28:29], v[30:31], v[28:29]
	v_fma_f64 v[30:31], v[150:151], s[8:9], v[198:199]
	v_add_f64 v[60:61], v[62:63], v[60:61]
	v_fma_f64 v[62:63], v[150:151], s[8:9], -v[198:199]
	v_fma_f64 v[198:199], v[138:139], s[12:13], -v[168:169]
	v_add_f64 v[28:29], v[30:31], v[28:29]
	v_fma_f64 v[30:31], v[154:155], s[16:17], v[200:201]
	v_add_f64 v[60:61], v[62:63], v[60:61]
	v_fma_f64 v[62:63], v[154:155], s[16:17], -v[200:201]
	v_add_f64 v[28:29], v[30:31], v[28:29]
	v_fma_f64 v[30:31], v[158:159], s[14:15], v[202:203]
	v_add_f64 v[60:61], v[62:63], v[60:61]
	v_fma_f64 v[62:63], v[158:159], s[14:15], -v[202:203]
	v_add_f64 v[28:29], v[30:31], v[28:29]
	v_fma_f64 v[30:31], v[146:147], s[12:13], -v[204:205]
	v_add_f64 v[60:61], v[62:63], v[60:61]
	v_fma_f64 v[62:63], v[146:147], s[12:13], v[204:205]
	v_add_f64 v[30:31], v[44:45], v[30:31]
	v_add_f64 v[62:63], v[44:45], v[62:63]
	v_add_f64 v[30:31], v[208:209], v[30:31]
	v_mul_f64 v[208:209], v[170:171], s[22:23]
	v_add_f64 v[62:63], v[194:195], v[62:63]
	v_mul_f64 v[170:171], v[170:171], s[44:45]
	v_fma_f64 v[210:211], v[142:143], s[10:11], -v[208:209]
	v_fma_f64 v[194:195], v[142:143], s[10:11], v[208:209]
	v_add_f64 v[30:31], v[210:211], v[30:31]
	v_mul_f64 v[210:211], v[172:173], s[6:7]
	v_add_f64 v[62:63], v[194:195], v[62:63]
	v_mul_f64 v[172:173], v[172:173], s[34:35]
	v_fma_f64 v[212:213], v[148:149], s[0:1], -v[210:211]
	v_fma_f64 v[194:195], v[148:149], s[0:1], v[210:211]
	v_add_f64 v[30:31], v[212:213], v[30:31]
	;; [unrolled: 6-line block ×4, first 2 shown]
	v_mul_f64 v[216:217], v[180:181], s[28:29]
	v_add_f64 v[62:63], v[194:195], v[62:63]
	v_mul_f64 v[180:181], v[180:181], s[20:21]
	v_fma_f64 v[194:195], v[160:161], s[14:15], v[216:217]
	v_fma_f64 v[218:219], v[160:161], s[14:15], -v[216:217]
	v_add_f64 v[194:195], v[194:195], v[62:63]
	v_fma_f64 v[62:63], v[162:163], s[4:5], -v[220:221]
	v_add_f64 v[218:219], v[218:219], v[30:31]
	v_fma_f64 v[30:31], v[162:163], s[4:5], v[220:221]
	v_add_f64 v[62:63], v[62:63], v[60:61]
	v_add_f64 v[60:61], v[196:197], v[194:195]
	v_mul_f64 v[194:195], v[32:33], s[36:37]
	v_mul_f64 v[196:197], v[34:35], s[40:41]
	v_add_f64 v[30:31], v[30:31], v[28:29]
	v_fma_f64 v[28:29], v[164:165], s[4:5], -v[222:223]
	v_fma_f64 v[32:33], v[136:137], s[4:5], v[194:195]
	v_fma_f64 v[34:35], v[134:135], s[12:13], v[196:197]
	v_fma_f64 v[136:137], v[136:137], s[4:5], -v[194:195]
	v_add_f64 v[28:29], v[28:29], v[218:219]
	v_add_f64 v[32:33], v[50:51], v[32:33]
	;; [unrolled: 1-line block ×4, first 2 shown]
	v_fma_f64 v[66:67], v[146:147], s[4:5], v[166:167]
	v_add_f64 v[32:33], v[34:35], v[32:33]
	v_fma_f64 v[34:35], v[140:141], s[14:15], v[178:179]
	v_add_f64 v[50:51], v[128:129], v[50:51]
	v_add_f64 v[66:67], v[44:45], v[66:67]
	;; [unrolled: 1-line block ×3, first 2 shown]
	v_fma_f64 v[34:35], v[144:145], s[18:19], v[184:185]
	v_add_f64 v[50:51], v[116:117], v[50:51]
	v_add_f64 v[32:33], v[34:35], v[32:33]
	v_fma_f64 v[34:35], v[150:151], s[16:17], v[188:189]
	v_add_f64 v[50:51], v[110:111], v[50:51]
	v_add_f64 v[32:33], v[34:35], v[32:33]
	v_fma_f64 v[34:35], v[154:155], s[10:11], v[190:191]
	v_add_f64 v[50:51], v[100:101], v[50:51]
	v_add_f64 v[32:33], v[34:35], v[32:33]
	v_fma_f64 v[34:35], v[158:159], s[8:9], v[192:193]
	v_add_f64 v[50:51], v[94:95], v[50:51]
	v_add_f64 v[32:33], v[34:35], v[32:33]
	v_fma_f64 v[34:35], v[146:147], s[4:5], -v[166:167]
	v_add_f64 v[50:51], v[68:69], v[50:51]
	v_add_f64 v[34:35], v[44:45], v[34:35]
	;; [unrolled: 1-line block ×4, first 2 shown]
	v_fma_f64 v[64:65], v[134:135], s[12:13], -v[196:197]
	v_fma_f64 v[134:135], v[138:139], s[12:13], v[168:169]
	v_fma_f64 v[138:139], v[140:141], s[14:15], -v[178:179]
	v_add_f64 v[34:35], v[198:199], v[34:35]
	v_add_f64 v[44:45], v[120:121], v[44:45]
	;; [unrolled: 1-line block ×4, first 2 shown]
	v_fma_f64 v[136:137], v[142:143], s[14:15], v[170:171]
	v_add_f64 v[66:67], v[134:135], v[66:67]
	v_fma_f64 v[134:135], v[144:145], s[18:19], -v[184:185]
	v_fma_f64 v[198:199], v[142:143], s[14:15], -v[170:171]
	v_add_f64 v[44:45], v[114:115], v[44:45]
	v_add_f64 v[50:51], v[90:91], v[50:51]
	v_add_f64 v[64:65], v[138:139], v[64:65]
	v_fma_f64 v[138:139], v[148:149], s[18:19], v[172:173]
	v_add_f64 v[66:67], v[136:137], v[66:67]
	v_fma_f64 v[136:137], v[150:151], s[16:17], -v[188:189]
	v_add_f64 v[34:35], v[198:199], v[34:35]
	v_fma_f64 v[198:199], v[148:149], s[18:19], -v[172:173]
	v_add_f64 v[44:45], v[102:103], v[44:45]
	v_add_f64 v[50:51], v[96:97], v[50:51]
	v_add_f64 v[64:65], v[134:135], v[64:65]
	v_fma_f64 v[134:135], v[152:153], s[16:17], v[174:175]
	v_add_f64 v[66:67], v[138:139], v[66:67]
	v_fma_f64 v[138:139], v[154:155], s[10:11], -v[190:191]
	v_add_f64 v[34:35], v[198:199], v[34:35]
	;; [unrolled: 8-line block ×4, first 2 shown]
	v_fma_f64 v[198:199], v[160:161], s[8:9], -v[180:181]
	v_add_f64 v[44:45], v[84:85], v[44:45]
	v_add_f64 v[50:51], v[122:123], v[50:51]
	;; [unrolled: 1-line block ×3, first 2 shown]
	v_fma_f64 v[134:135], v[164:165], s[0:1], v[186:187]
	v_add_f64 v[138:139], v[138:139], v[66:67]
	v_add_f64 v[198:199], v[198:199], v[34:35]
	v_fma_f64 v[34:35], v[162:163], s[0:1], v[182:183]
	v_add_f64 v[44:45], v[80:81], v[44:45]
	v_add_f64 v[50:51], v[126:127], v[50:51]
	;; [unrolled: 1-line block ×5, first 2 shown]
	v_fma_f64 v[32:33], v[164:165], s[0:1], -v[186:187]
	v_add_f64 v[44:45], v[70:71], v[44:45]
	v_add_f64 v[70:71], v[132:133], v[50:51]
	v_lshlrev_b64 v[50:51], 4, v[74:75]
	v_add_f64 v[32:33], v[32:33], v[198:199]
	v_add_f64 v[44:45], v[88:89], v[44:45]
	;; [unrolled: 1-line block ×8, first 2 shown]
	v_add_co_u32 v44, vcc_lo, s2, v76
	v_add_co_ci_u32_e32 v45, vcc_lo, s3, v77, vcc_lo
	v_add_co_u32 v50, vcc_lo, v44, v50
	v_add_co_ci_u32_e32 v51, vcc_lo, v45, v51, vcc_lo
	global_store_dwordx4 v[50:51], v[68:71], off
	global_store_dwordx4 v[50:51], v[64:67], off offset:256
	global_store_dwordx4 v[50:51], v[60:63], off offset:512
	;; [unrolled: 1-line block ×4, first 2 shown]
	v_lshlrev_b64 v[52:53], 4, v[78:79]
	v_or_b32_e32 v78, 0x90, v74
	global_store_dwordx4 v[50:51], v[46:49], off offset:1280
	global_store_dwordx4 v[50:51], v[40:43], off offset:1536
	;; [unrolled: 1-line block ×3, first 2 shown]
	v_lshlrev_b64 v[36:37], 4, v[78:79]
	v_or_b32_e32 v78, 0xa0, v74
	v_add_co_u32 v38, vcc_lo, v44, v52
	v_add_co_ci_u32_e32 v39, vcc_lo, v45, v53, vcc_lo
	v_lshlrev_b64 v[40:41], 4, v[78:79]
	v_or_b32_e32 v78, 0xb0, v74
	v_add_co_u32 v36, vcc_lo, v44, v36
	v_add_co_ci_u32_e32 v37, vcc_lo, v45, v37, vcc_lo
	;; [unrolled: 4-line block ×4, first 2 shown]
	global_store_dwordx4 v[38:39], v[4:7], off
	global_store_dwordx4 v[36:37], v[0:3], off
	;; [unrolled: 1-line block ×4, first 2 shown]
	v_lshlrev_b64 v[0:1], 4, v[78:79]
	v_or_b32_e32 v78, 0xe0, v74
	v_add_co_u32 v2, vcc_lo, v44, v46
	v_add_co_ci_u32_e32 v3, vcc_lo, v45, v47, vcc_lo
	v_lshlrev_b64 v[4:5], 4, v[78:79]
	v_or_b32_e32 v78, 0xf0, v74
	v_add_co_u32 v0, vcc_lo, v44, v0
	v_add_co_ci_u32_e32 v1, vcc_lo, v45, v1, vcc_lo
	;; [unrolled: 4-line block ×3, first 2 shown]
	v_lshlrev_b64 v[8:9], 4, v[78:79]
	v_add_co_u32 v6, vcc_lo, v44, v6
	v_add_co_ci_u32_e32 v7, vcc_lo, v45, v7, vcc_lo
	v_add_co_u32 v8, vcc_lo, v44, v8
	v_add_co_ci_u32_e32 v9, vcc_lo, v45, v9, vcc_lo
	global_store_dwordx4 v[2:3], v[16:19], off
	global_store_dwordx4 v[0:1], v[20:23], off
	;; [unrolled: 1-line block ×5, first 2 shown]
	s_endpgm
	.section	.rodata,"a",@progbits
	.p2align	6, 0x0
	.amdhsa_kernel fft_rtc_back_len272_factors_16_17_wgs_119_tpt_17_halfLds_dp_ip_CI_unitstride_sbrr_dirReg
		.amdhsa_group_segment_fixed_size 0
		.amdhsa_private_segment_fixed_size 0
		.amdhsa_kernarg_size 88
		.amdhsa_user_sgpr_count 6
		.amdhsa_user_sgpr_private_segment_buffer 1
		.amdhsa_user_sgpr_dispatch_ptr 0
		.amdhsa_user_sgpr_queue_ptr 0
		.amdhsa_user_sgpr_kernarg_segment_ptr 1
		.amdhsa_user_sgpr_dispatch_id 0
		.amdhsa_user_sgpr_flat_scratch_init 0
		.amdhsa_user_sgpr_private_segment_size 0
		.amdhsa_wavefront_size32 1
		.amdhsa_uses_dynamic_stack 0
		.amdhsa_system_sgpr_private_segment_wavefront_offset 0
		.amdhsa_system_sgpr_workgroup_id_x 1
		.amdhsa_system_sgpr_workgroup_id_y 0
		.amdhsa_system_sgpr_workgroup_id_z 0
		.amdhsa_system_sgpr_workgroup_info 0
		.amdhsa_system_vgpr_workitem_id 0
		.amdhsa_next_free_vgpr 224
		.amdhsa_next_free_sgpr 50
		.amdhsa_reserve_vcc 1
		.amdhsa_reserve_flat_scratch 0
		.amdhsa_float_round_mode_32 0
		.amdhsa_float_round_mode_16_64 0
		.amdhsa_float_denorm_mode_32 3
		.amdhsa_float_denorm_mode_16_64 3
		.amdhsa_dx10_clamp 1
		.amdhsa_ieee_mode 1
		.amdhsa_fp16_overflow 0
		.amdhsa_workgroup_processor_mode 1
		.amdhsa_memory_ordered 1
		.amdhsa_forward_progress 0
		.amdhsa_shared_vgpr_count 0
		.amdhsa_exception_fp_ieee_invalid_op 0
		.amdhsa_exception_fp_denorm_src 0
		.amdhsa_exception_fp_ieee_div_zero 0
		.amdhsa_exception_fp_ieee_overflow 0
		.amdhsa_exception_fp_ieee_underflow 0
		.amdhsa_exception_fp_ieee_inexact 0
		.amdhsa_exception_int_div_zero 0
	.end_amdhsa_kernel
	.text
.Lfunc_end0:
	.size	fft_rtc_back_len272_factors_16_17_wgs_119_tpt_17_halfLds_dp_ip_CI_unitstride_sbrr_dirReg, .Lfunc_end0-fft_rtc_back_len272_factors_16_17_wgs_119_tpt_17_halfLds_dp_ip_CI_unitstride_sbrr_dirReg
                                        ; -- End function
	.section	.AMDGPU.csdata,"",@progbits
; Kernel info:
; codeLenInByte = 10636
; NumSgprs: 52
; NumVgprs: 224
; ScratchSize: 0
; MemoryBound: 1
; FloatMode: 240
; IeeeMode: 1
; LDSByteSize: 0 bytes/workgroup (compile time only)
; SGPRBlocks: 6
; VGPRBlocks: 27
; NumSGPRsForWavesPerEU: 52
; NumVGPRsForWavesPerEU: 224
; Occupancy: 4
; WaveLimiterHint : 1
; COMPUTE_PGM_RSRC2:SCRATCH_EN: 0
; COMPUTE_PGM_RSRC2:USER_SGPR: 6
; COMPUTE_PGM_RSRC2:TRAP_HANDLER: 0
; COMPUTE_PGM_RSRC2:TGID_X_EN: 1
; COMPUTE_PGM_RSRC2:TGID_Y_EN: 0
; COMPUTE_PGM_RSRC2:TGID_Z_EN: 0
; COMPUTE_PGM_RSRC2:TIDIG_COMP_CNT: 0
	.text
	.p2alignl 6, 3214868480
	.fill 48, 4, 3214868480
	.type	__hip_cuid_b7db28de311d15b3,@object ; @__hip_cuid_b7db28de311d15b3
	.section	.bss,"aw",@nobits
	.globl	__hip_cuid_b7db28de311d15b3
__hip_cuid_b7db28de311d15b3:
	.byte	0                               ; 0x0
	.size	__hip_cuid_b7db28de311d15b3, 1

	.ident	"AMD clang version 19.0.0git (https://github.com/RadeonOpenCompute/llvm-project roc-6.4.0 25133 c7fe45cf4b819c5991fe208aaa96edf142730f1d)"
	.section	".note.GNU-stack","",@progbits
	.addrsig
	.addrsig_sym __hip_cuid_b7db28de311d15b3
	.amdgpu_metadata
---
amdhsa.kernels:
  - .args:
      - .actual_access:  read_only
        .address_space:  global
        .offset:         0
        .size:           8
        .value_kind:     global_buffer
      - .offset:         8
        .size:           8
        .value_kind:     by_value
      - .actual_access:  read_only
        .address_space:  global
        .offset:         16
        .size:           8
        .value_kind:     global_buffer
      - .actual_access:  read_only
        .address_space:  global
        .offset:         24
        .size:           8
        .value_kind:     global_buffer
      - .offset:         32
        .size:           8
        .value_kind:     by_value
      - .actual_access:  read_only
        .address_space:  global
        .offset:         40
        .size:           8
        .value_kind:     global_buffer
      - .actual_access:  read_only
        .address_space:  global
        .offset:         48
        .size:           8
        .value_kind:     global_buffer
      - .offset:         56
        .size:           4
        .value_kind:     by_value
      - .actual_access:  read_only
        .address_space:  global
        .offset:         64
        .size:           8
        .value_kind:     global_buffer
      - .actual_access:  read_only
        .address_space:  global
        .offset:         72
        .size:           8
        .value_kind:     global_buffer
      - .address_space:  global
        .offset:         80
        .size:           8
        .value_kind:     global_buffer
    .group_segment_fixed_size: 0
    .kernarg_segment_align: 8
    .kernarg_segment_size: 88
    .language:       OpenCL C
    .language_version:
      - 2
      - 0
    .max_flat_workgroup_size: 119
    .name:           fft_rtc_back_len272_factors_16_17_wgs_119_tpt_17_halfLds_dp_ip_CI_unitstride_sbrr_dirReg
    .private_segment_fixed_size: 0
    .sgpr_count:     52
    .sgpr_spill_count: 0
    .symbol:         fft_rtc_back_len272_factors_16_17_wgs_119_tpt_17_halfLds_dp_ip_CI_unitstride_sbrr_dirReg.kd
    .uniform_work_group_size: 1
    .uses_dynamic_stack: false
    .vgpr_count:     224
    .vgpr_spill_count: 0
    .wavefront_size: 32
    .workgroup_processor_mode: 1
amdhsa.target:   amdgcn-amd-amdhsa--gfx1030
amdhsa.version:
  - 1
  - 2
...

	.end_amdgpu_metadata
